;; amdgpu-corpus repo=ROCm/rocSPARSE kind=compiled arch=gfx1030 opt=O3
	.amdgcn_target "amdgcn-amd-amdhsa--gfx1030"
	.amdhsa_code_object_version 6
	.section	.text._ZN9rocsparseL22ell_width_kernel_part1ILj256EiiEEvT1_PKT0_PS1_,"axG",@progbits,_ZN9rocsparseL22ell_width_kernel_part1ILj256EiiEEvT1_PKT0_PS1_,comdat
	.globl	_ZN9rocsparseL22ell_width_kernel_part1ILj256EiiEEvT1_PKT0_PS1_ ; -- Begin function _ZN9rocsparseL22ell_width_kernel_part1ILj256EiiEEvT1_PKT0_PS1_
	.p2align	8
	.type	_ZN9rocsparseL22ell_width_kernel_part1ILj256EiiEEvT1_PKT0_PS1_,@function
_ZN9rocsparseL22ell_width_kernel_part1ILj256EiiEEvT1_PKT0_PS1_: ; @_ZN9rocsparseL22ell_width_kernel_part1ILj256EiiEEvT1_PKT0_PS1_
; %bb.0:
	s_clause 0x1
	s_load_dword s7, s[4:5], 0x0
	s_load_dwordx4 s[0:3], s[4:5], 0x8
	v_lshl_or_b32 v1, s6, 8, v0
	v_lshlrev_b32_e32 v3, 2, v0
	v_mov_b32_e32 v2, 0
	s_mov_b32 s8, exec_lo
	ds_write_b32 v3, v2
	s_waitcnt lgkmcnt(0)
	v_cmpx_gt_u32_e64 s7, v1
	s_cbranch_execz .LBB0_4
; %bb.1:
	s_load_dword s4, s[4:5], 0x18
	v_mov_b32_e32 v4, v2
	s_waitcnt lgkmcnt(0)
	s_lshl_b32 s5, s4, 8
	s_mov_b32 s4, 0
.LBB0_2:                                ; =>This Inner Loop Header: Depth=1
	v_lshlrev_b64 v[5:6], 2, v[1:2]
	v_add_nc_u32_e32 v1, s5, v1
	v_add_co_u32 v5, vcc_lo, s0, v5
	v_add_co_ci_u32_e64 v6, null, s1, v6, vcc_lo
	v_cmp_le_u32_e32 vcc_lo, s7, v1
	global_load_dwordx2 v[5:6], v[5:6], off
	s_or_b32 s4, vcc_lo, s4
	s_waitcnt vmcnt(0)
	v_sub_nc_u32_e32 v5, v6, v5
	v_max_i32_e32 v4, v4, v5
	s_andn2_b32 exec_lo, exec_lo, s4
	s_cbranch_execnz .LBB0_2
; %bb.3:
	s_or_b32 exec_lo, exec_lo, s4
	ds_write_b32 v3, v4
.LBB0_4:
	s_or_b32 exec_lo, exec_lo, s8
	s_mov_b32 s0, exec_lo
	s_waitcnt lgkmcnt(0)
	s_barrier
	buffer_gl0_inv
	v_cmpx_gt_u32_e32 0x80, v0
	s_cbranch_execz .LBB0_6
; %bb.5:
	ds_read2st64_b32 v[1:2], v3 offset1:2
	s_waitcnt lgkmcnt(0)
	v_max_i32_e32 v1, v1, v2
	ds_write_b32 v3, v1
.LBB0_6:
	s_or_b32 exec_lo, exec_lo, s0
	s_mov_b32 s0, exec_lo
	s_waitcnt lgkmcnt(0)
	s_barrier
	buffer_gl0_inv
	v_cmpx_gt_u32_e32 64, v0
	s_cbranch_execz .LBB0_8
; %bb.7:
	ds_read2st64_b32 v[1:2], v3 offset1:1
	s_waitcnt lgkmcnt(0)
	v_max_i32_e32 v1, v1, v2
	ds_write_b32 v3, v1
.LBB0_8:
	s_or_b32 exec_lo, exec_lo, s0
	s_mov_b32 s0, exec_lo
	s_waitcnt lgkmcnt(0)
	s_barrier
	buffer_gl0_inv
	v_cmpx_gt_u32_e32 32, v0
	s_cbranch_execz .LBB0_10
; %bb.9:
	ds_read2_b32 v[1:2], v3 offset1:32
	s_waitcnt lgkmcnt(0)
	v_max_i32_e32 v1, v1, v2
	ds_write_b32 v3, v1
.LBB0_10:
	s_or_b32 exec_lo, exec_lo, s0
	s_mov_b32 s0, exec_lo
	s_waitcnt lgkmcnt(0)
	s_barrier
	buffer_gl0_inv
	v_cmpx_gt_u32_e32 16, v0
	s_cbranch_execz .LBB0_12
; %bb.11:
	ds_read2_b32 v[1:2], v3 offset1:16
	s_waitcnt lgkmcnt(0)
	v_max_i32_e32 v1, v1, v2
	ds_write_b32 v3, v1
.LBB0_12:
	;; [unrolled: 13-line block ×5, first 2 shown]
	s_or_b32 exec_lo, exec_lo, s0
	v_cmp_eq_u32_e32 vcc_lo, 0, v0
	s_waitcnt lgkmcnt(0)
	s_barrier
	buffer_gl0_inv
	s_and_saveexec_b32 s0, vcc_lo
	s_cbranch_execz .LBB0_20
; %bb.19:
	v_mov_b32_e32 v2, 0
	ds_read_b64 v[0:1], v2
	s_waitcnt lgkmcnt(0)
	v_max_i32_e32 v0, v0, v1
	ds_write_b32 v2, v0
.LBB0_20:
	s_or_b32 exec_lo, exec_lo, s0
	s_waitcnt lgkmcnt(0)
	s_barrier
	buffer_gl0_inv
	s_and_saveexec_b32 s0, vcc_lo
	s_cbranch_execz .LBB0_22
; %bb.21:
	v_mov_b32_e32 v0, 0
	s_mov_b32 s7, 0
	s_lshl_b64 s[0:1], s[6:7], 2
	s_add_u32 s0, s2, s0
	ds_read_b32 v1, v0
	s_addc_u32 s1, s3, s1
	s_waitcnt lgkmcnt(0)
	global_store_dword v0, v1, s[0:1]
.LBB0_22:
	s_endpgm
	.section	.rodata,"a",@progbits
	.p2align	6, 0x0
	.amdhsa_kernel _ZN9rocsparseL22ell_width_kernel_part1ILj256EiiEEvT1_PKT0_PS1_
		.amdhsa_group_segment_fixed_size 1024
		.amdhsa_private_segment_fixed_size 0
		.amdhsa_kernarg_size 280
		.amdhsa_user_sgpr_count 6
		.amdhsa_user_sgpr_private_segment_buffer 1
		.amdhsa_user_sgpr_dispatch_ptr 0
		.amdhsa_user_sgpr_queue_ptr 0
		.amdhsa_user_sgpr_kernarg_segment_ptr 1
		.amdhsa_user_sgpr_dispatch_id 0
		.amdhsa_user_sgpr_flat_scratch_init 0
		.amdhsa_user_sgpr_private_segment_size 0
		.amdhsa_wavefront_size32 1
		.amdhsa_uses_dynamic_stack 0
		.amdhsa_system_sgpr_private_segment_wavefront_offset 0
		.amdhsa_system_sgpr_workgroup_id_x 1
		.amdhsa_system_sgpr_workgroup_id_y 0
		.amdhsa_system_sgpr_workgroup_id_z 0
		.amdhsa_system_sgpr_workgroup_info 0
		.amdhsa_system_vgpr_workitem_id 0
		.amdhsa_next_free_vgpr 7
		.amdhsa_next_free_sgpr 9
		.amdhsa_reserve_vcc 1
		.amdhsa_reserve_flat_scratch 0
		.amdhsa_float_round_mode_32 0
		.amdhsa_float_round_mode_16_64 0
		.amdhsa_float_denorm_mode_32 3
		.amdhsa_float_denorm_mode_16_64 3
		.amdhsa_dx10_clamp 1
		.amdhsa_ieee_mode 1
		.amdhsa_fp16_overflow 0
		.amdhsa_workgroup_processor_mode 1
		.amdhsa_memory_ordered 1
		.amdhsa_forward_progress 1
		.amdhsa_shared_vgpr_count 0
		.amdhsa_exception_fp_ieee_invalid_op 0
		.amdhsa_exception_fp_denorm_src 0
		.amdhsa_exception_fp_ieee_div_zero 0
		.amdhsa_exception_fp_ieee_overflow 0
		.amdhsa_exception_fp_ieee_underflow 0
		.amdhsa_exception_fp_ieee_inexact 0
		.amdhsa_exception_int_div_zero 0
	.end_amdhsa_kernel
	.section	.text._ZN9rocsparseL22ell_width_kernel_part1ILj256EiiEEvT1_PKT0_PS1_,"axG",@progbits,_ZN9rocsparseL22ell_width_kernel_part1ILj256EiiEEvT1_PKT0_PS1_,comdat
.Lfunc_end0:
	.size	_ZN9rocsparseL22ell_width_kernel_part1ILj256EiiEEvT1_PKT0_PS1_, .Lfunc_end0-_ZN9rocsparseL22ell_width_kernel_part1ILj256EiiEEvT1_PKT0_PS1_
                                        ; -- End function
	.set _ZN9rocsparseL22ell_width_kernel_part1ILj256EiiEEvT1_PKT0_PS1_.num_vgpr, 7
	.set _ZN9rocsparseL22ell_width_kernel_part1ILj256EiiEEvT1_PKT0_PS1_.num_agpr, 0
	.set _ZN9rocsparseL22ell_width_kernel_part1ILj256EiiEEvT1_PKT0_PS1_.numbered_sgpr, 9
	.set _ZN9rocsparseL22ell_width_kernel_part1ILj256EiiEEvT1_PKT0_PS1_.num_named_barrier, 0
	.set _ZN9rocsparseL22ell_width_kernel_part1ILj256EiiEEvT1_PKT0_PS1_.private_seg_size, 0
	.set _ZN9rocsparseL22ell_width_kernel_part1ILj256EiiEEvT1_PKT0_PS1_.uses_vcc, 1
	.set _ZN9rocsparseL22ell_width_kernel_part1ILj256EiiEEvT1_PKT0_PS1_.uses_flat_scratch, 0
	.set _ZN9rocsparseL22ell_width_kernel_part1ILj256EiiEEvT1_PKT0_PS1_.has_dyn_sized_stack, 0
	.set _ZN9rocsparseL22ell_width_kernel_part1ILj256EiiEEvT1_PKT0_PS1_.has_recursion, 0
	.set _ZN9rocsparseL22ell_width_kernel_part1ILj256EiiEEvT1_PKT0_PS1_.has_indirect_call, 0
	.section	.AMDGPU.csdata,"",@progbits
; Kernel info:
; codeLenInByte = 692
; TotalNumSgprs: 11
; NumVgprs: 7
; ScratchSize: 0
; MemoryBound: 0
; FloatMode: 240
; IeeeMode: 1
; LDSByteSize: 1024 bytes/workgroup (compile time only)
; SGPRBlocks: 0
; VGPRBlocks: 0
; NumSGPRsForWavesPerEU: 11
; NumVGPRsForWavesPerEU: 7
; Occupancy: 16
; WaveLimiterHint : 0
; COMPUTE_PGM_RSRC2:SCRATCH_EN: 0
; COMPUTE_PGM_RSRC2:USER_SGPR: 6
; COMPUTE_PGM_RSRC2:TRAP_HANDLER: 0
; COMPUTE_PGM_RSRC2:TGID_X_EN: 1
; COMPUTE_PGM_RSRC2:TGID_Y_EN: 0
; COMPUTE_PGM_RSRC2:TGID_Z_EN: 0
; COMPUTE_PGM_RSRC2:TIDIG_COMP_CNT: 0
	.section	.text._ZN9rocsparseL22ell_width_kernel_part2ILj256EiEEvT0_PS1_,"axG",@progbits,_ZN9rocsparseL22ell_width_kernel_part2ILj256EiEEvT0_PS1_,comdat
	.globl	_ZN9rocsparseL22ell_width_kernel_part2ILj256EiEEvT0_PS1_ ; -- Begin function _ZN9rocsparseL22ell_width_kernel_part2ILj256EiEEvT0_PS1_
	.p2align	8
	.type	_ZN9rocsparseL22ell_width_kernel_part2ILj256EiEEvT0_PS1_,@function
_ZN9rocsparseL22ell_width_kernel_part2ILj256EiEEvT0_PS1_: ; @_ZN9rocsparseL22ell_width_kernel_part2ILj256EiEEvT0_PS1_
; %bb.0:
	s_clause 0x1
	s_load_dword s2, s[4:5], 0x0
	s_load_dwordx2 s[0:1], s[4:5], 0x8
	v_lshlrev_b32_e32 v3, 2, v0
	v_mov_b32_e32 v2, 0
	s_mov_b32 s3, exec_lo
	ds_write_b32 v3, v2
	s_waitcnt lgkmcnt(0)
	v_cmpx_gt_u32_e64 s2, v0
	s_cbranch_execz .LBB1_4
; %bb.1:
	v_mov_b32_e32 v4, 0
	v_mov_b32_e32 v1, v0
	s_mov_b32 s4, 0
.LBB1_2:                                ; =>This Inner Loop Header: Depth=1
	v_lshlrev_b64 v[5:6], 2, v[1:2]
	v_add_nc_u32_e32 v1, 0x100, v1
	v_add_co_u32 v5, vcc_lo, s0, v5
	v_add_co_ci_u32_e64 v6, null, s1, v6, vcc_lo
	v_cmp_le_u32_e32 vcc_lo, s2, v1
	global_load_dword v5, v[5:6], off
	s_or_b32 s4, vcc_lo, s4
	s_waitcnt vmcnt(0)
	v_max_i32_e32 v4, v4, v5
	s_andn2_b32 exec_lo, exec_lo, s4
	s_cbranch_execnz .LBB1_2
; %bb.3:
	s_or_b32 exec_lo, exec_lo, s4
	ds_write_b32 v3, v4
.LBB1_4:
	s_or_b32 exec_lo, exec_lo, s3
	s_mov_b32 s2, exec_lo
	s_waitcnt lgkmcnt(0)
	s_barrier
	buffer_gl0_inv
	v_cmpx_gt_u32_e32 0x80, v0
	s_cbranch_execz .LBB1_6
; %bb.5:
	ds_read2st64_b32 v[1:2], v3 offset1:2
	s_waitcnt lgkmcnt(0)
	v_max_i32_e32 v1, v1, v2
	ds_write_b32 v3, v1
.LBB1_6:
	s_or_b32 exec_lo, exec_lo, s2
	s_mov_b32 s2, exec_lo
	s_waitcnt lgkmcnt(0)
	s_barrier
	buffer_gl0_inv
	v_cmpx_gt_u32_e32 64, v0
	s_cbranch_execz .LBB1_8
; %bb.7:
	ds_read2st64_b32 v[1:2], v3 offset1:1
	s_waitcnt lgkmcnt(0)
	v_max_i32_e32 v1, v1, v2
	ds_write_b32 v3, v1
.LBB1_8:
	s_or_b32 exec_lo, exec_lo, s2
	s_mov_b32 s2, exec_lo
	s_waitcnt lgkmcnt(0)
	s_barrier
	buffer_gl0_inv
	v_cmpx_gt_u32_e32 32, v0
	s_cbranch_execz .LBB1_10
; %bb.9:
	ds_read2_b32 v[1:2], v3 offset1:32
	s_waitcnt lgkmcnt(0)
	v_max_i32_e32 v1, v1, v2
	ds_write_b32 v3, v1
.LBB1_10:
	s_or_b32 exec_lo, exec_lo, s2
	s_mov_b32 s2, exec_lo
	s_waitcnt lgkmcnt(0)
	s_barrier
	buffer_gl0_inv
	v_cmpx_gt_u32_e32 16, v0
	s_cbranch_execz .LBB1_12
; %bb.11:
	ds_read2_b32 v[1:2], v3 offset1:16
	s_waitcnt lgkmcnt(0)
	v_max_i32_e32 v1, v1, v2
	ds_write_b32 v3, v1
.LBB1_12:
	;; [unrolled: 13-line block ×5, first 2 shown]
	s_or_b32 exec_lo, exec_lo, s2
	v_cmp_eq_u32_e32 vcc_lo, 0, v0
	s_waitcnt lgkmcnt(0)
	s_barrier
	buffer_gl0_inv
	s_and_saveexec_b32 s2, vcc_lo
	s_cbranch_execz .LBB1_20
; %bb.19:
	v_mov_b32_e32 v2, 0
	ds_read_b64 v[0:1], v2
	s_waitcnt lgkmcnt(0)
	v_max_i32_e32 v0, v0, v1
	ds_write_b32 v2, v0
.LBB1_20:
	s_or_b32 exec_lo, exec_lo, s2
	s_waitcnt lgkmcnt(0)
	s_barrier
	buffer_gl0_inv
	s_and_saveexec_b32 s2, vcc_lo
	s_cbranch_execz .LBB1_22
; %bb.21:
	v_mov_b32_e32 v0, 0
	ds_read_b32 v1, v0
	s_waitcnt lgkmcnt(0)
	global_store_dword v0, v1, s[0:1]
.LBB1_22:
	s_endpgm
	.section	.rodata,"a",@progbits
	.p2align	6, 0x0
	.amdhsa_kernel _ZN9rocsparseL22ell_width_kernel_part2ILj256EiEEvT0_PS1_
		.amdhsa_group_segment_fixed_size 1024
		.amdhsa_private_segment_fixed_size 0
		.amdhsa_kernarg_size 16
		.amdhsa_user_sgpr_count 6
		.amdhsa_user_sgpr_private_segment_buffer 1
		.amdhsa_user_sgpr_dispatch_ptr 0
		.amdhsa_user_sgpr_queue_ptr 0
		.amdhsa_user_sgpr_kernarg_segment_ptr 1
		.amdhsa_user_sgpr_dispatch_id 0
		.amdhsa_user_sgpr_flat_scratch_init 0
		.amdhsa_user_sgpr_private_segment_size 0
		.amdhsa_wavefront_size32 1
		.amdhsa_uses_dynamic_stack 0
		.amdhsa_system_sgpr_private_segment_wavefront_offset 0
		.amdhsa_system_sgpr_workgroup_id_x 1
		.amdhsa_system_sgpr_workgroup_id_y 0
		.amdhsa_system_sgpr_workgroup_id_z 0
		.amdhsa_system_sgpr_workgroup_info 0
		.amdhsa_system_vgpr_workitem_id 0
		.amdhsa_next_free_vgpr 7
		.amdhsa_next_free_sgpr 6
		.amdhsa_reserve_vcc 1
		.amdhsa_reserve_flat_scratch 0
		.amdhsa_float_round_mode_32 0
		.amdhsa_float_round_mode_16_64 0
		.amdhsa_float_denorm_mode_32 3
		.amdhsa_float_denorm_mode_16_64 3
		.amdhsa_dx10_clamp 1
		.amdhsa_ieee_mode 1
		.amdhsa_fp16_overflow 0
		.amdhsa_workgroup_processor_mode 1
		.amdhsa_memory_ordered 1
		.amdhsa_forward_progress 1
		.amdhsa_shared_vgpr_count 0
		.amdhsa_exception_fp_ieee_invalid_op 0
		.amdhsa_exception_fp_denorm_src 0
		.amdhsa_exception_fp_ieee_div_zero 0
		.amdhsa_exception_fp_ieee_overflow 0
		.amdhsa_exception_fp_ieee_underflow 0
		.amdhsa_exception_fp_ieee_inexact 0
		.amdhsa_exception_int_div_zero 0
	.end_amdhsa_kernel
	.section	.text._ZN9rocsparseL22ell_width_kernel_part2ILj256EiEEvT0_PS1_,"axG",@progbits,_ZN9rocsparseL22ell_width_kernel_part2ILj256EiEEvT0_PS1_,comdat
.Lfunc_end1:
	.size	_ZN9rocsparseL22ell_width_kernel_part2ILj256EiEEvT0_PS1_, .Lfunc_end1-_ZN9rocsparseL22ell_width_kernel_part2ILj256EiEEvT0_PS1_
                                        ; -- End function
	.set _ZN9rocsparseL22ell_width_kernel_part2ILj256EiEEvT0_PS1_.num_vgpr, 7
	.set _ZN9rocsparseL22ell_width_kernel_part2ILj256EiEEvT0_PS1_.num_agpr, 0
	.set _ZN9rocsparseL22ell_width_kernel_part2ILj256EiEEvT0_PS1_.numbered_sgpr, 6
	.set _ZN9rocsparseL22ell_width_kernel_part2ILj256EiEEvT0_PS1_.num_named_barrier, 0
	.set _ZN9rocsparseL22ell_width_kernel_part2ILj256EiEEvT0_PS1_.private_seg_size, 0
	.set _ZN9rocsparseL22ell_width_kernel_part2ILj256EiEEvT0_PS1_.uses_vcc, 1
	.set _ZN9rocsparseL22ell_width_kernel_part2ILj256EiEEvT0_PS1_.uses_flat_scratch, 0
	.set _ZN9rocsparseL22ell_width_kernel_part2ILj256EiEEvT0_PS1_.has_dyn_sized_stack, 0
	.set _ZN9rocsparseL22ell_width_kernel_part2ILj256EiEEvT0_PS1_.has_recursion, 0
	.set _ZN9rocsparseL22ell_width_kernel_part2ILj256EiEEvT0_PS1_.has_indirect_call, 0
	.section	.AMDGPU.csdata,"",@progbits
; Kernel info:
; codeLenInByte = 656
; TotalNumSgprs: 8
; NumVgprs: 7
; ScratchSize: 0
; MemoryBound: 0
; FloatMode: 240
; IeeeMode: 1
; LDSByteSize: 1024 bytes/workgroup (compile time only)
; SGPRBlocks: 0
; VGPRBlocks: 0
; NumSGPRsForWavesPerEU: 8
; NumVGPRsForWavesPerEU: 7
; Occupancy: 16
; WaveLimiterHint : 0
; COMPUTE_PGM_RSRC2:SCRATCH_EN: 0
; COMPUTE_PGM_RSRC2:USER_SGPR: 6
; COMPUTE_PGM_RSRC2:TRAP_HANDLER: 0
; COMPUTE_PGM_RSRC2:TGID_X_EN: 1
; COMPUTE_PGM_RSRC2:TGID_Y_EN: 0
; COMPUTE_PGM_RSRC2:TGID_Z_EN: 0
; COMPUTE_PGM_RSRC2:TIDIG_COMP_CNT: 0
	.section	.text._ZN9rocsparseL22ell_width_kernel_part1ILj256EliEEvT1_PKT0_PS1_,"axG",@progbits,_ZN9rocsparseL22ell_width_kernel_part1ILj256EliEEvT1_PKT0_PS1_,comdat
	.globl	_ZN9rocsparseL22ell_width_kernel_part1ILj256EliEEvT1_PKT0_PS1_ ; -- Begin function _ZN9rocsparseL22ell_width_kernel_part1ILj256EliEEvT1_PKT0_PS1_
	.p2align	8
	.type	_ZN9rocsparseL22ell_width_kernel_part1ILj256EliEEvT1_PKT0_PS1_,@function
_ZN9rocsparseL22ell_width_kernel_part1ILj256EliEEvT1_PKT0_PS1_: ; @_ZN9rocsparseL22ell_width_kernel_part1ILj256EliEEvT1_PKT0_PS1_
; %bb.0:
	s_clause 0x1
	s_load_dword s7, s[4:5], 0x0
	s_load_dwordx4 s[0:3], s[4:5], 0x8
	v_lshl_or_b32 v1, s6, 8, v0
	v_lshlrev_b32_e32 v3, 2, v0
	v_mov_b32_e32 v2, 0
	s_mov_b32 s8, exec_lo
	ds_write_b32 v3, v2
	s_waitcnt lgkmcnt(0)
	v_cmpx_gt_u32_e64 s7, v1
	s_cbranch_execz .LBB2_4
; %bb.1:
	s_load_dword s4, s[4:5], 0x18
	v_mov_b32_e32 v4, v2
	s_waitcnt lgkmcnt(0)
	s_lshl_b32 s5, s4, 8
	s_mov_b32 s4, 0
.LBB2_2:                                ; =>This Inner Loop Header: Depth=1
	v_lshlrev_b64 v[5:6], 3, v[1:2]
	v_add_nc_u32_e32 v1, s5, v1
	v_add_co_u32 v5, vcc_lo, s0, v5
	v_add_co_ci_u32_e64 v6, null, s1, v6, vcc_lo
	v_cmp_le_u32_e32 vcc_lo, s7, v1
	global_load_dwordx4 v[5:8], v[5:6], off
	s_or_b32 s4, vcc_lo, s4
	s_waitcnt vmcnt(0)
	v_sub_nc_u32_e32 v5, v7, v5
	v_max_i32_e32 v4, v4, v5
	s_andn2_b32 exec_lo, exec_lo, s4
	s_cbranch_execnz .LBB2_2
; %bb.3:
	s_or_b32 exec_lo, exec_lo, s4
	ds_write_b32 v3, v4
.LBB2_4:
	s_or_b32 exec_lo, exec_lo, s8
	s_mov_b32 s0, exec_lo
	s_waitcnt lgkmcnt(0)
	s_barrier
	buffer_gl0_inv
	v_cmpx_gt_u32_e32 0x80, v0
	s_cbranch_execz .LBB2_6
; %bb.5:
	ds_read2st64_b32 v[1:2], v3 offset1:2
	s_waitcnt lgkmcnt(0)
	v_max_i32_e32 v1, v1, v2
	ds_write_b32 v3, v1
.LBB2_6:
	s_or_b32 exec_lo, exec_lo, s0
	s_mov_b32 s0, exec_lo
	s_waitcnt lgkmcnt(0)
	s_barrier
	buffer_gl0_inv
	v_cmpx_gt_u32_e32 64, v0
	s_cbranch_execz .LBB2_8
; %bb.7:
	ds_read2st64_b32 v[1:2], v3 offset1:1
	s_waitcnt lgkmcnt(0)
	v_max_i32_e32 v1, v1, v2
	ds_write_b32 v3, v1
.LBB2_8:
	s_or_b32 exec_lo, exec_lo, s0
	s_mov_b32 s0, exec_lo
	s_waitcnt lgkmcnt(0)
	s_barrier
	buffer_gl0_inv
	v_cmpx_gt_u32_e32 32, v0
	s_cbranch_execz .LBB2_10
; %bb.9:
	ds_read2_b32 v[1:2], v3 offset1:32
	s_waitcnt lgkmcnt(0)
	v_max_i32_e32 v1, v1, v2
	ds_write_b32 v3, v1
.LBB2_10:
	s_or_b32 exec_lo, exec_lo, s0
	s_mov_b32 s0, exec_lo
	s_waitcnt lgkmcnt(0)
	s_barrier
	buffer_gl0_inv
	v_cmpx_gt_u32_e32 16, v0
	s_cbranch_execz .LBB2_12
; %bb.11:
	ds_read2_b32 v[1:2], v3 offset1:16
	s_waitcnt lgkmcnt(0)
	v_max_i32_e32 v1, v1, v2
	ds_write_b32 v3, v1
.LBB2_12:
	;; [unrolled: 13-line block ×5, first 2 shown]
	s_or_b32 exec_lo, exec_lo, s0
	v_cmp_eq_u32_e32 vcc_lo, 0, v0
	s_waitcnt lgkmcnt(0)
	s_barrier
	buffer_gl0_inv
	s_and_saveexec_b32 s0, vcc_lo
	s_cbranch_execz .LBB2_20
; %bb.19:
	v_mov_b32_e32 v2, 0
	ds_read_b64 v[0:1], v2
	s_waitcnt lgkmcnt(0)
	v_max_i32_e32 v0, v0, v1
	ds_write_b32 v2, v0
.LBB2_20:
	s_or_b32 exec_lo, exec_lo, s0
	s_waitcnt lgkmcnt(0)
	s_barrier
	buffer_gl0_inv
	s_and_saveexec_b32 s0, vcc_lo
	s_cbranch_execz .LBB2_22
; %bb.21:
	v_mov_b32_e32 v0, 0
	s_mov_b32 s7, 0
	s_lshl_b64 s[0:1], s[6:7], 2
	s_add_u32 s0, s2, s0
	ds_read_b32 v1, v0
	s_addc_u32 s1, s3, s1
	s_waitcnt lgkmcnt(0)
	global_store_dword v0, v1, s[0:1]
.LBB2_22:
	s_endpgm
	.section	.rodata,"a",@progbits
	.p2align	6, 0x0
	.amdhsa_kernel _ZN9rocsparseL22ell_width_kernel_part1ILj256EliEEvT1_PKT0_PS1_
		.amdhsa_group_segment_fixed_size 1024
		.amdhsa_private_segment_fixed_size 0
		.amdhsa_kernarg_size 280
		.amdhsa_user_sgpr_count 6
		.amdhsa_user_sgpr_private_segment_buffer 1
		.amdhsa_user_sgpr_dispatch_ptr 0
		.amdhsa_user_sgpr_queue_ptr 0
		.amdhsa_user_sgpr_kernarg_segment_ptr 1
		.amdhsa_user_sgpr_dispatch_id 0
		.amdhsa_user_sgpr_flat_scratch_init 0
		.amdhsa_user_sgpr_private_segment_size 0
		.amdhsa_wavefront_size32 1
		.amdhsa_uses_dynamic_stack 0
		.amdhsa_system_sgpr_private_segment_wavefront_offset 0
		.amdhsa_system_sgpr_workgroup_id_x 1
		.amdhsa_system_sgpr_workgroup_id_y 0
		.amdhsa_system_sgpr_workgroup_id_z 0
		.amdhsa_system_sgpr_workgroup_info 0
		.amdhsa_system_vgpr_workitem_id 0
		.amdhsa_next_free_vgpr 9
		.amdhsa_next_free_sgpr 9
		.amdhsa_reserve_vcc 1
		.amdhsa_reserve_flat_scratch 0
		.amdhsa_float_round_mode_32 0
		.amdhsa_float_round_mode_16_64 0
		.amdhsa_float_denorm_mode_32 3
		.amdhsa_float_denorm_mode_16_64 3
		.amdhsa_dx10_clamp 1
		.amdhsa_ieee_mode 1
		.amdhsa_fp16_overflow 0
		.amdhsa_workgroup_processor_mode 1
		.amdhsa_memory_ordered 1
		.amdhsa_forward_progress 1
		.amdhsa_shared_vgpr_count 0
		.amdhsa_exception_fp_ieee_invalid_op 0
		.amdhsa_exception_fp_denorm_src 0
		.amdhsa_exception_fp_ieee_div_zero 0
		.amdhsa_exception_fp_ieee_overflow 0
		.amdhsa_exception_fp_ieee_underflow 0
		.amdhsa_exception_fp_ieee_inexact 0
		.amdhsa_exception_int_div_zero 0
	.end_amdhsa_kernel
	.section	.text._ZN9rocsparseL22ell_width_kernel_part1ILj256EliEEvT1_PKT0_PS1_,"axG",@progbits,_ZN9rocsparseL22ell_width_kernel_part1ILj256EliEEvT1_PKT0_PS1_,comdat
.Lfunc_end2:
	.size	_ZN9rocsparseL22ell_width_kernel_part1ILj256EliEEvT1_PKT0_PS1_, .Lfunc_end2-_ZN9rocsparseL22ell_width_kernel_part1ILj256EliEEvT1_PKT0_PS1_
                                        ; -- End function
	.set _ZN9rocsparseL22ell_width_kernel_part1ILj256EliEEvT1_PKT0_PS1_.num_vgpr, 9
	.set _ZN9rocsparseL22ell_width_kernel_part1ILj256EliEEvT1_PKT0_PS1_.num_agpr, 0
	.set _ZN9rocsparseL22ell_width_kernel_part1ILj256EliEEvT1_PKT0_PS1_.numbered_sgpr, 9
	.set _ZN9rocsparseL22ell_width_kernel_part1ILj256EliEEvT1_PKT0_PS1_.num_named_barrier, 0
	.set _ZN9rocsparseL22ell_width_kernel_part1ILj256EliEEvT1_PKT0_PS1_.private_seg_size, 0
	.set _ZN9rocsparseL22ell_width_kernel_part1ILj256EliEEvT1_PKT0_PS1_.uses_vcc, 1
	.set _ZN9rocsparseL22ell_width_kernel_part1ILj256EliEEvT1_PKT0_PS1_.uses_flat_scratch, 0
	.set _ZN9rocsparseL22ell_width_kernel_part1ILj256EliEEvT1_PKT0_PS1_.has_dyn_sized_stack, 0
	.set _ZN9rocsparseL22ell_width_kernel_part1ILj256EliEEvT1_PKT0_PS1_.has_recursion, 0
	.set _ZN9rocsparseL22ell_width_kernel_part1ILj256EliEEvT1_PKT0_PS1_.has_indirect_call, 0
	.section	.AMDGPU.csdata,"",@progbits
; Kernel info:
; codeLenInByte = 692
; TotalNumSgprs: 11
; NumVgprs: 9
; ScratchSize: 0
; MemoryBound: 0
; FloatMode: 240
; IeeeMode: 1
; LDSByteSize: 1024 bytes/workgroup (compile time only)
; SGPRBlocks: 0
; VGPRBlocks: 1
; NumSGPRsForWavesPerEU: 11
; NumVGPRsForWavesPerEU: 9
; Occupancy: 16
; WaveLimiterHint : 0
; COMPUTE_PGM_RSRC2:SCRATCH_EN: 0
; COMPUTE_PGM_RSRC2:USER_SGPR: 6
; COMPUTE_PGM_RSRC2:TRAP_HANDLER: 0
; COMPUTE_PGM_RSRC2:TGID_X_EN: 1
; COMPUTE_PGM_RSRC2:TGID_Y_EN: 0
; COMPUTE_PGM_RSRC2:TGID_Z_EN: 0
; COMPUTE_PGM_RSRC2:TIDIG_COMP_CNT: 0
	.section	.text._ZN9rocsparseL22ell_width_kernel_part1ILj256EilEEvT1_PKT0_PS1_,"axG",@progbits,_ZN9rocsparseL22ell_width_kernel_part1ILj256EilEEvT1_PKT0_PS1_,comdat
	.globl	_ZN9rocsparseL22ell_width_kernel_part1ILj256EilEEvT1_PKT0_PS1_ ; -- Begin function _ZN9rocsparseL22ell_width_kernel_part1ILj256EilEEvT1_PKT0_PS1_
	.p2align	8
	.type	_ZN9rocsparseL22ell_width_kernel_part1ILj256EilEEvT1_PKT0_PS1_,@function
_ZN9rocsparseL22ell_width_kernel_part1ILj256EilEEvT1_PKT0_PS1_: ; @_ZN9rocsparseL22ell_width_kernel_part1ILj256EilEEvT1_PKT0_PS1_
; %bb.0:
	s_clause 0x1
	s_load_dwordx4 s[8:11], s[4:5], 0x0
	s_load_dwordx2 s[2:3], s[4:5], 0x10
	v_mov_b32_e32 v2, 0
	v_lshl_or_b32 v1, s6, 8, v0
	v_lshlrev_b32_e32 v7, 3, v0
	s_mov_b32 s7, 0
	s_mov_b32 s1, exec_lo
	v_mov_b32_e32 v3, v2
	v_mov_b32_e32 v4, v2
	ds_write_b64 v7, v[3:4]
	s_waitcnt lgkmcnt(0)
	v_cmpx_gt_i64_e64 s[8:9], v[1:2]
	s_cbranch_execz .LBB3_4
; %bb.1:
	s_load_dword s0, s[4:5], 0x18
	v_mov_b32_e32 v3, 0
	v_mov_b32_e32 v6, v2
	;; [unrolled: 1-line block ×5, first 2 shown]
	s_waitcnt lgkmcnt(0)
	s_lshl_b32 s4, s0, 8
	.p2align	6
.LBB3_2:                                ; =>This Inner Loop Header: Depth=1
	v_add_nc_u32_e32 v1, 1, v8
	v_lshlrev_b64 v[5:6], 2, v[5:6]
	v_lshlrev_b64 v[9:10], 2, v[1:2]
	v_add_co_u32 v5, vcc_lo, s10, v5
	v_add_co_ci_u32_e64 v6, null, s11, v6, vcc_lo
	v_add_co_u32 v9, vcc_lo, s10, v9
	v_add_co_ci_u32_e64 v10, null, s11, v10, vcc_lo
	s_clause 0x1
	global_load_dword v1, v[9:10], off
	global_load_dword v5, v[5:6], off
	s_waitcnt vmcnt(0)
	v_sub_nc_u32_e32 v9, v1, v5
	v_add_nc_u32_e32 v1, s4, v8
	v_mov_b32_e32 v6, v2
	v_ashrrev_i32_e32 v10, 31, v9
	v_cmp_le_u64_e64 s0, s[8:9], v[1:2]
	v_mov_b32_e32 v8, v1
	v_mov_b32_e32 v5, v1
	v_cmp_gt_i64_e32 vcc_lo, v[3:4], v[9:10]
	s_or_b32 s7, s0, s7
	v_cndmask_b32_e32 v4, v10, v4, vcc_lo
	v_cndmask_b32_e32 v3, v9, v3, vcc_lo
	s_andn2_b32 exec_lo, exec_lo, s7
	s_cbranch_execnz .LBB3_2
; %bb.3:
	s_or_b32 exec_lo, exec_lo, s7
	ds_write_b64 v7, v[3:4]
.LBB3_4:
	s_or_b32 exec_lo, exec_lo, s1
	s_mov_b32 s0, exec_lo
	s_waitcnt lgkmcnt(0)
	s_barrier
	buffer_gl0_inv
	v_cmpx_gt_u32_e32 0x80, v0
	s_cbranch_execz .LBB3_6
; %bb.5:
	ds_read2st64_b64 v[1:4], v7 offset1:2
	s_waitcnt lgkmcnt(0)
	v_cmp_gt_i64_e32 vcc_lo, v[1:2], v[3:4]
	v_cndmask_b32_e32 v2, v4, v2, vcc_lo
	v_cndmask_b32_e32 v1, v3, v1, vcc_lo
	ds_write_b64 v7, v[1:2]
.LBB3_6:
	s_or_b32 exec_lo, exec_lo, s0
	s_mov_b32 s0, exec_lo
	s_waitcnt lgkmcnt(0)
	s_barrier
	buffer_gl0_inv
	v_cmpx_gt_u32_e32 64, v0
	s_cbranch_execz .LBB3_8
; %bb.7:
	ds_read2st64_b64 v[1:4], v7 offset1:1
	s_waitcnt lgkmcnt(0)
	v_cmp_gt_i64_e32 vcc_lo, v[1:2], v[3:4]
	v_cndmask_b32_e32 v2, v4, v2, vcc_lo
	v_cndmask_b32_e32 v1, v3, v1, vcc_lo
	ds_write_b64 v7, v[1:2]
.LBB3_8:
	s_or_b32 exec_lo, exec_lo, s0
	s_mov_b32 s0, exec_lo
	s_waitcnt lgkmcnt(0)
	s_barrier
	buffer_gl0_inv
	v_cmpx_gt_u32_e32 32, v0
	s_cbranch_execz .LBB3_10
; %bb.9:
	ds_read2_b64 v[1:4], v7 offset1:32
	s_waitcnt lgkmcnt(0)
	v_cmp_gt_i64_e32 vcc_lo, v[1:2], v[3:4]
	v_cndmask_b32_e32 v2, v4, v2, vcc_lo
	v_cndmask_b32_e32 v1, v3, v1, vcc_lo
	ds_write_b64 v7, v[1:2]
.LBB3_10:
	s_or_b32 exec_lo, exec_lo, s0
	s_mov_b32 s0, exec_lo
	s_waitcnt lgkmcnt(0)
	s_barrier
	buffer_gl0_inv
	v_cmpx_gt_u32_e32 16, v0
	s_cbranch_execz .LBB3_12
; %bb.11:
	ds_read2_b64 v[1:4], v7 offset1:16
	s_waitcnt lgkmcnt(0)
	v_cmp_gt_i64_e32 vcc_lo, v[1:2], v[3:4]
	v_cndmask_b32_e32 v2, v4, v2, vcc_lo
	v_cndmask_b32_e32 v1, v3, v1, vcc_lo
	ds_write_b64 v7, v[1:2]
.LBB3_12:
	;; [unrolled: 15-line block ×5, first 2 shown]
	s_or_b32 exec_lo, exec_lo, s0
	v_cmp_eq_u32_e32 vcc_lo, 0, v0
	s_waitcnt lgkmcnt(0)
	s_barrier
	buffer_gl0_inv
	s_and_saveexec_b32 s1, vcc_lo
	s_cbranch_execz .LBB3_20
; %bb.19:
	v_mov_b32_e32 v4, 0
	ds_read_b128 v[0:3], v4
	s_waitcnt lgkmcnt(0)
	v_cmp_gt_i64_e64 s0, v[0:1], v[2:3]
	v_cndmask_b32_e64 v1, v3, v1, s0
	v_cndmask_b32_e64 v0, v2, v0, s0
	ds_write_b64 v4, v[0:1]
.LBB3_20:
	s_or_b32 exec_lo, exec_lo, s1
	s_waitcnt lgkmcnt(0)
	s_barrier
	buffer_gl0_inv
	s_and_saveexec_b32 s0, vcc_lo
	s_cbranch_execz .LBB3_22
; %bb.21:
	v_mov_b32_e32 v2, 0
	s_mov_b32 s7, 0
	s_lshl_b64 s[0:1], s[6:7], 3
	s_add_u32 s0, s2, s0
	ds_read_b64 v[0:1], v2
	s_addc_u32 s1, s3, s1
	s_waitcnt lgkmcnt(0)
	global_store_dwordx2 v2, v[0:1], s[0:1]
.LBB3_22:
	s_endpgm
	.section	.rodata,"a",@progbits
	.p2align	6, 0x0
	.amdhsa_kernel _ZN9rocsparseL22ell_width_kernel_part1ILj256EilEEvT1_PKT0_PS1_
		.amdhsa_group_segment_fixed_size 2048
		.amdhsa_private_segment_fixed_size 0
		.amdhsa_kernarg_size 280
		.amdhsa_user_sgpr_count 6
		.amdhsa_user_sgpr_private_segment_buffer 1
		.amdhsa_user_sgpr_dispatch_ptr 0
		.amdhsa_user_sgpr_queue_ptr 0
		.amdhsa_user_sgpr_kernarg_segment_ptr 1
		.amdhsa_user_sgpr_dispatch_id 0
		.amdhsa_user_sgpr_flat_scratch_init 0
		.amdhsa_user_sgpr_private_segment_size 0
		.amdhsa_wavefront_size32 1
		.amdhsa_uses_dynamic_stack 0
		.amdhsa_system_sgpr_private_segment_wavefront_offset 0
		.amdhsa_system_sgpr_workgroup_id_x 1
		.amdhsa_system_sgpr_workgroup_id_y 0
		.amdhsa_system_sgpr_workgroup_id_z 0
		.amdhsa_system_sgpr_workgroup_info 0
		.amdhsa_system_vgpr_workitem_id 0
		.amdhsa_next_free_vgpr 11
		.amdhsa_next_free_sgpr 12
		.amdhsa_reserve_vcc 1
		.amdhsa_reserve_flat_scratch 0
		.amdhsa_float_round_mode_32 0
		.amdhsa_float_round_mode_16_64 0
		.amdhsa_float_denorm_mode_32 3
		.amdhsa_float_denorm_mode_16_64 3
		.amdhsa_dx10_clamp 1
		.amdhsa_ieee_mode 1
		.amdhsa_fp16_overflow 0
		.amdhsa_workgroup_processor_mode 1
		.amdhsa_memory_ordered 1
		.amdhsa_forward_progress 1
		.amdhsa_shared_vgpr_count 0
		.amdhsa_exception_fp_ieee_invalid_op 0
		.amdhsa_exception_fp_denorm_src 0
		.amdhsa_exception_fp_ieee_div_zero 0
		.amdhsa_exception_fp_ieee_overflow 0
		.amdhsa_exception_fp_ieee_underflow 0
		.amdhsa_exception_fp_ieee_inexact 0
		.amdhsa_exception_int_div_zero 0
	.end_amdhsa_kernel
	.section	.text._ZN9rocsparseL22ell_width_kernel_part1ILj256EilEEvT1_PKT0_PS1_,"axG",@progbits,_ZN9rocsparseL22ell_width_kernel_part1ILj256EilEEvT1_PKT0_PS1_,comdat
.Lfunc_end3:
	.size	_ZN9rocsparseL22ell_width_kernel_part1ILj256EilEEvT1_PKT0_PS1_, .Lfunc_end3-_ZN9rocsparseL22ell_width_kernel_part1ILj256EilEEvT1_PKT0_PS1_
                                        ; -- End function
	.set _ZN9rocsparseL22ell_width_kernel_part1ILj256EilEEvT1_PKT0_PS1_.num_vgpr, 11
	.set _ZN9rocsparseL22ell_width_kernel_part1ILj256EilEEvT1_PKT0_PS1_.num_agpr, 0
	.set _ZN9rocsparseL22ell_width_kernel_part1ILj256EilEEvT1_PKT0_PS1_.numbered_sgpr, 12
	.set _ZN9rocsparseL22ell_width_kernel_part1ILj256EilEEvT1_PKT0_PS1_.num_named_barrier, 0
	.set _ZN9rocsparseL22ell_width_kernel_part1ILj256EilEEvT1_PKT0_PS1_.private_seg_size, 0
	.set _ZN9rocsparseL22ell_width_kernel_part1ILj256EilEEvT1_PKT0_PS1_.uses_vcc, 1
	.set _ZN9rocsparseL22ell_width_kernel_part1ILj256EilEEvT1_PKT0_PS1_.uses_flat_scratch, 0
	.set _ZN9rocsparseL22ell_width_kernel_part1ILj256EilEEvT1_PKT0_PS1_.has_dyn_sized_stack, 0
	.set _ZN9rocsparseL22ell_width_kernel_part1ILj256EilEEvT1_PKT0_PS1_.has_recursion, 0
	.set _ZN9rocsparseL22ell_width_kernel_part1ILj256EilEEvT1_PKT0_PS1_.has_indirect_call, 0
	.section	.AMDGPU.csdata,"",@progbits
; Kernel info:
; codeLenInByte = 876
; TotalNumSgprs: 14
; NumVgprs: 11
; ScratchSize: 0
; MemoryBound: 0
; FloatMode: 240
; IeeeMode: 1
; LDSByteSize: 2048 bytes/workgroup (compile time only)
; SGPRBlocks: 0
; VGPRBlocks: 1
; NumSGPRsForWavesPerEU: 14
; NumVGPRsForWavesPerEU: 11
; Occupancy: 16
; WaveLimiterHint : 0
; COMPUTE_PGM_RSRC2:SCRATCH_EN: 0
; COMPUTE_PGM_RSRC2:USER_SGPR: 6
; COMPUTE_PGM_RSRC2:TRAP_HANDLER: 0
; COMPUTE_PGM_RSRC2:TGID_X_EN: 1
; COMPUTE_PGM_RSRC2:TGID_Y_EN: 0
; COMPUTE_PGM_RSRC2:TGID_Z_EN: 0
; COMPUTE_PGM_RSRC2:TIDIG_COMP_CNT: 0
	.section	.text._ZN9rocsparseL22ell_width_kernel_part2ILj256ElEEvT0_PS1_,"axG",@progbits,_ZN9rocsparseL22ell_width_kernel_part2ILj256ElEEvT0_PS1_,comdat
	.globl	_ZN9rocsparseL22ell_width_kernel_part2ILj256ElEEvT0_PS1_ ; -- Begin function _ZN9rocsparseL22ell_width_kernel_part2ILj256ElEEvT0_PS1_
	.p2align	8
	.type	_ZN9rocsparseL22ell_width_kernel_part2ILj256ElEEvT0_PS1_,@function
_ZN9rocsparseL22ell_width_kernel_part2ILj256ElEEvT0_PS1_: ; @_ZN9rocsparseL22ell_width_kernel_part2ILj256ElEEvT0_PS1_
; %bb.0:
	s_load_dwordx4 s[4:7], s[4:5], 0x0
	v_mov_b32_e32 v3, 0
	v_lshlrev_b32_e32 v8, 3, v0
	s_mov_b32 s2, 0
	s_mov_b32 s1, exec_lo
	v_mov_b32_e32 v1, v3
	v_mov_b32_e32 v2, v3
	ds_write_b64 v8, v[2:3]
	s_waitcnt lgkmcnt(0)
	v_cmpx_gt_i64_e64 s[4:5], v[0:1]
	s_cbranch_execz .LBB4_4
; %bb.1:
	v_mov_b32_e32 v4, 0
	v_mov_b32_e32 v7, v1
	v_or_b32_e32 v2, 0x100, v0
	v_mov_b32_e32 v5, 0
	v_mov_b32_e32 v6, v0
	.p2align	6
.LBB4_2:                                ; =>This Inner Loop Header: Depth=1
	v_lshlrev_b64 v[6:7], 3, v[6:7]
	v_cmp_le_u64_e64 s0, s[4:5], v[2:3]
	v_add_co_u32 v6, vcc_lo, s6, v6
	v_add_co_ci_u32_e64 v7, null, s7, v7, vcc_lo
	s_or_b32 s2, s0, s2
	global_load_dwordx2 v[9:10], v[6:7], off
	v_mov_b32_e32 v7, v3
	v_mov_b32_e32 v6, v2
	v_add_nc_u32_e32 v2, 0x100, v2
	s_waitcnt vmcnt(0)
	v_cmp_gt_i64_e32 vcc_lo, v[4:5], v[9:10]
	v_cndmask_b32_e32 v5, v10, v5, vcc_lo
	v_cndmask_b32_e32 v4, v9, v4, vcc_lo
	s_andn2_b32 exec_lo, exec_lo, s2
	s_cbranch_execnz .LBB4_2
; %bb.3:
	s_or_b32 exec_lo, exec_lo, s2
	ds_write_b64 v8, v[4:5]
.LBB4_4:
	s_or_b32 exec_lo, exec_lo, s1
	s_mov_b32 s0, exec_lo
	s_waitcnt lgkmcnt(0)
	s_barrier
	buffer_gl0_inv
	v_cmpx_gt_u32_e32 0x80, v0
	s_cbranch_execz .LBB4_6
; %bb.5:
	ds_read2st64_b64 v[1:4], v8 offset1:2
	s_waitcnt lgkmcnt(0)
	v_cmp_gt_i64_e32 vcc_lo, v[1:2], v[3:4]
	v_cndmask_b32_e32 v2, v4, v2, vcc_lo
	v_cndmask_b32_e32 v1, v3, v1, vcc_lo
	ds_write_b64 v8, v[1:2]
.LBB4_6:
	s_or_b32 exec_lo, exec_lo, s0
	s_mov_b32 s0, exec_lo
	s_waitcnt lgkmcnt(0)
	s_barrier
	buffer_gl0_inv
	v_cmpx_gt_u32_e32 64, v0
	s_cbranch_execz .LBB4_8
; %bb.7:
	ds_read2st64_b64 v[1:4], v8 offset1:1
	s_waitcnt lgkmcnt(0)
	v_cmp_gt_i64_e32 vcc_lo, v[1:2], v[3:4]
	v_cndmask_b32_e32 v2, v4, v2, vcc_lo
	v_cndmask_b32_e32 v1, v3, v1, vcc_lo
	ds_write_b64 v8, v[1:2]
.LBB4_8:
	s_or_b32 exec_lo, exec_lo, s0
	s_mov_b32 s0, exec_lo
	s_waitcnt lgkmcnt(0)
	s_barrier
	buffer_gl0_inv
	v_cmpx_gt_u32_e32 32, v0
	s_cbranch_execz .LBB4_10
; %bb.9:
	ds_read2_b64 v[1:4], v8 offset1:32
	s_waitcnt lgkmcnt(0)
	v_cmp_gt_i64_e32 vcc_lo, v[1:2], v[3:4]
	v_cndmask_b32_e32 v2, v4, v2, vcc_lo
	v_cndmask_b32_e32 v1, v3, v1, vcc_lo
	ds_write_b64 v8, v[1:2]
.LBB4_10:
	s_or_b32 exec_lo, exec_lo, s0
	s_mov_b32 s0, exec_lo
	s_waitcnt lgkmcnt(0)
	s_barrier
	buffer_gl0_inv
	v_cmpx_gt_u32_e32 16, v0
	s_cbranch_execz .LBB4_12
; %bb.11:
	ds_read2_b64 v[1:4], v8 offset1:16
	s_waitcnt lgkmcnt(0)
	v_cmp_gt_i64_e32 vcc_lo, v[1:2], v[3:4]
	v_cndmask_b32_e32 v2, v4, v2, vcc_lo
	v_cndmask_b32_e32 v1, v3, v1, vcc_lo
	ds_write_b64 v8, v[1:2]
.LBB4_12:
	;; [unrolled: 15-line block ×5, first 2 shown]
	s_or_b32 exec_lo, exec_lo, s0
	v_cmp_eq_u32_e32 vcc_lo, 0, v0
	s_waitcnt lgkmcnt(0)
	s_barrier
	buffer_gl0_inv
	s_and_saveexec_b32 s1, vcc_lo
	s_cbranch_execz .LBB4_20
; %bb.19:
	v_mov_b32_e32 v4, 0
	ds_read_b128 v[0:3], v4
	s_waitcnt lgkmcnt(0)
	v_cmp_gt_i64_e64 s0, v[0:1], v[2:3]
	v_cndmask_b32_e64 v1, v3, v1, s0
	v_cndmask_b32_e64 v0, v2, v0, s0
	ds_write_b64 v4, v[0:1]
.LBB4_20:
	s_or_b32 exec_lo, exec_lo, s1
	s_waitcnt lgkmcnt(0)
	s_barrier
	buffer_gl0_inv
	s_and_saveexec_b32 s0, vcc_lo
	s_cbranch_execz .LBB4_22
; %bb.21:
	v_mov_b32_e32 v2, 0
	ds_read_b64 v[0:1], v2
	s_waitcnt lgkmcnt(0)
	global_store_dwordx2 v2, v[0:1], s[6:7]
.LBB4_22:
	s_endpgm
	.section	.rodata,"a",@progbits
	.p2align	6, 0x0
	.amdhsa_kernel _ZN9rocsparseL22ell_width_kernel_part2ILj256ElEEvT0_PS1_
		.amdhsa_group_segment_fixed_size 2048
		.amdhsa_private_segment_fixed_size 0
		.amdhsa_kernarg_size 16
		.amdhsa_user_sgpr_count 6
		.amdhsa_user_sgpr_private_segment_buffer 1
		.amdhsa_user_sgpr_dispatch_ptr 0
		.amdhsa_user_sgpr_queue_ptr 0
		.amdhsa_user_sgpr_kernarg_segment_ptr 1
		.amdhsa_user_sgpr_dispatch_id 0
		.amdhsa_user_sgpr_flat_scratch_init 0
		.amdhsa_user_sgpr_private_segment_size 0
		.amdhsa_wavefront_size32 1
		.amdhsa_uses_dynamic_stack 0
		.amdhsa_system_sgpr_private_segment_wavefront_offset 0
		.amdhsa_system_sgpr_workgroup_id_x 1
		.amdhsa_system_sgpr_workgroup_id_y 0
		.amdhsa_system_sgpr_workgroup_id_z 0
		.amdhsa_system_sgpr_workgroup_info 0
		.amdhsa_system_vgpr_workitem_id 0
		.amdhsa_next_free_vgpr 11
		.amdhsa_next_free_sgpr 8
		.amdhsa_reserve_vcc 1
		.amdhsa_reserve_flat_scratch 0
		.amdhsa_float_round_mode_32 0
		.amdhsa_float_round_mode_16_64 0
		.amdhsa_float_denorm_mode_32 3
		.amdhsa_float_denorm_mode_16_64 3
		.amdhsa_dx10_clamp 1
		.amdhsa_ieee_mode 1
		.amdhsa_fp16_overflow 0
		.amdhsa_workgroup_processor_mode 1
		.amdhsa_memory_ordered 1
		.amdhsa_forward_progress 1
		.amdhsa_shared_vgpr_count 0
		.amdhsa_exception_fp_ieee_invalid_op 0
		.amdhsa_exception_fp_denorm_src 0
		.amdhsa_exception_fp_ieee_div_zero 0
		.amdhsa_exception_fp_ieee_overflow 0
		.amdhsa_exception_fp_ieee_underflow 0
		.amdhsa_exception_fp_ieee_inexact 0
		.amdhsa_exception_int_div_zero 0
	.end_amdhsa_kernel
	.section	.text._ZN9rocsparseL22ell_width_kernel_part2ILj256ElEEvT0_PS1_,"axG",@progbits,_ZN9rocsparseL22ell_width_kernel_part2ILj256ElEEvT0_PS1_,comdat
.Lfunc_end4:
	.size	_ZN9rocsparseL22ell_width_kernel_part2ILj256ElEEvT0_PS1_, .Lfunc_end4-_ZN9rocsparseL22ell_width_kernel_part2ILj256ElEEvT0_PS1_
                                        ; -- End function
	.set _ZN9rocsparseL22ell_width_kernel_part2ILj256ElEEvT0_PS1_.num_vgpr, 11
	.set _ZN9rocsparseL22ell_width_kernel_part2ILj256ElEEvT0_PS1_.num_agpr, 0
	.set _ZN9rocsparseL22ell_width_kernel_part2ILj256ElEEvT0_PS1_.numbered_sgpr, 8
	.set _ZN9rocsparseL22ell_width_kernel_part2ILj256ElEEvT0_PS1_.num_named_barrier, 0
	.set _ZN9rocsparseL22ell_width_kernel_part2ILj256ElEEvT0_PS1_.private_seg_size, 0
	.set _ZN9rocsparseL22ell_width_kernel_part2ILj256ElEEvT0_PS1_.uses_vcc, 1
	.set _ZN9rocsparseL22ell_width_kernel_part2ILj256ElEEvT0_PS1_.uses_flat_scratch, 0
	.set _ZN9rocsparseL22ell_width_kernel_part2ILj256ElEEvT0_PS1_.has_dyn_sized_stack, 0
	.set _ZN9rocsparseL22ell_width_kernel_part2ILj256ElEEvT0_PS1_.has_recursion, 0
	.set _ZN9rocsparseL22ell_width_kernel_part2ILj256ElEEvT0_PS1_.has_indirect_call, 0
	.section	.AMDGPU.csdata,"",@progbits
; Kernel info:
; codeLenInByte = 812
; TotalNumSgprs: 10
; NumVgprs: 11
; ScratchSize: 0
; MemoryBound: 0
; FloatMode: 240
; IeeeMode: 1
; LDSByteSize: 2048 bytes/workgroup (compile time only)
; SGPRBlocks: 0
; VGPRBlocks: 1
; NumSGPRsForWavesPerEU: 10
; NumVGPRsForWavesPerEU: 11
; Occupancy: 16
; WaveLimiterHint : 0
; COMPUTE_PGM_RSRC2:SCRATCH_EN: 0
; COMPUTE_PGM_RSRC2:USER_SGPR: 6
; COMPUTE_PGM_RSRC2:TRAP_HANDLER: 0
; COMPUTE_PGM_RSRC2:TGID_X_EN: 1
; COMPUTE_PGM_RSRC2:TGID_Y_EN: 0
; COMPUTE_PGM_RSRC2:TGID_Z_EN: 0
; COMPUTE_PGM_RSRC2:TIDIG_COMP_CNT: 0
	.section	.text._ZN9rocsparseL22ell_width_kernel_part1ILj256EllEEvT1_PKT0_PS1_,"axG",@progbits,_ZN9rocsparseL22ell_width_kernel_part1ILj256EllEEvT1_PKT0_PS1_,comdat
	.globl	_ZN9rocsparseL22ell_width_kernel_part1ILj256EllEEvT1_PKT0_PS1_ ; -- Begin function _ZN9rocsparseL22ell_width_kernel_part1ILj256EllEEvT1_PKT0_PS1_
	.p2align	8
	.type	_ZN9rocsparseL22ell_width_kernel_part1ILj256EllEEvT1_PKT0_PS1_,@function
_ZN9rocsparseL22ell_width_kernel_part1ILj256EllEEvT1_PKT0_PS1_: ; @_ZN9rocsparseL22ell_width_kernel_part1ILj256EllEEvT1_PKT0_PS1_
; %bb.0:
	s_clause 0x1
	s_load_dwordx4 s[8:11], s[4:5], 0x0
	s_load_dwordx2 s[2:3], s[4:5], 0x10
	v_mov_b32_e32 v2, 0
	v_lshl_or_b32 v1, s6, 8, v0
	v_lshlrev_b32_e32 v7, 3, v0
	s_mov_b32 s7, 0
	s_mov_b32 s1, exec_lo
	v_mov_b32_e32 v3, v2
	v_mov_b32_e32 v4, v2
	ds_write_b64 v7, v[3:4]
	s_waitcnt lgkmcnt(0)
	v_cmpx_gt_i64_e64 s[8:9], v[1:2]
	s_cbranch_execz .LBB5_4
; %bb.1:
	s_load_dword s0, s[4:5], 0x18
	v_mov_b32_e32 v3, 0
	v_mov_b32_e32 v6, v2
	;; [unrolled: 1-line block ×5, first 2 shown]
	s_waitcnt lgkmcnt(0)
	s_lshl_b32 s4, s0, 8
	s_inst_prefetch 0x1
	.p2align	6
.LBB5_2:                                ; =>This Inner Loop Header: Depth=1
	v_add_nc_u32_e32 v1, 1, v8
	v_lshlrev_b64 v[5:6], 3, v[5:6]
	v_lshlrev_b64 v[9:10], 3, v[1:2]
	v_add_nc_u32_e32 v1, s4, v8
	v_add_co_u32 v5, vcc_lo, s10, v5
	v_add_co_ci_u32_e64 v6, null, s11, v6, vcc_lo
	v_add_co_u32 v9, vcc_lo, s10, v9
	v_add_co_ci_u32_e64 v10, null, s11, v10, vcc_lo
	v_cmp_le_u64_e64 s0, s[8:9], v[1:2]
	v_mov_b32_e32 v8, v1
	s_clause 0x1
	global_load_dwordx2 v[9:10], v[9:10], off
	global_load_dwordx2 v[5:6], v[5:6], off
	s_or_b32 s7, s0, s7
	s_waitcnt vmcnt(0)
	v_sub_co_u32 v9, vcc_lo, v9, v5
	v_sub_co_ci_u32_e64 v10, null, v10, v6, vcc_lo
	v_mov_b32_e32 v6, v2
	v_mov_b32_e32 v5, v1
	v_cmp_gt_i64_e32 vcc_lo, v[3:4], v[9:10]
	v_cndmask_b32_e32 v4, v10, v4, vcc_lo
	v_cndmask_b32_e32 v3, v9, v3, vcc_lo
	s_andn2_b32 exec_lo, exec_lo, s7
	s_cbranch_execnz .LBB5_2
; %bb.3:
	s_inst_prefetch 0x2
	s_or_b32 exec_lo, exec_lo, s7
	ds_write_b64 v7, v[3:4]
.LBB5_4:
	s_or_b32 exec_lo, exec_lo, s1
	s_mov_b32 s0, exec_lo
	s_waitcnt lgkmcnt(0)
	s_barrier
	buffer_gl0_inv
	v_cmpx_gt_u32_e32 0x80, v0
	s_cbranch_execz .LBB5_6
; %bb.5:
	ds_read2st64_b64 v[1:4], v7 offset1:2
	s_waitcnt lgkmcnt(0)
	v_cmp_gt_i64_e32 vcc_lo, v[1:2], v[3:4]
	v_cndmask_b32_e32 v2, v4, v2, vcc_lo
	v_cndmask_b32_e32 v1, v3, v1, vcc_lo
	ds_write_b64 v7, v[1:2]
.LBB5_6:
	s_or_b32 exec_lo, exec_lo, s0
	s_mov_b32 s0, exec_lo
	s_waitcnt lgkmcnt(0)
	s_barrier
	buffer_gl0_inv
	v_cmpx_gt_u32_e32 64, v0
	s_cbranch_execz .LBB5_8
; %bb.7:
	ds_read2st64_b64 v[1:4], v7 offset1:1
	s_waitcnt lgkmcnt(0)
	v_cmp_gt_i64_e32 vcc_lo, v[1:2], v[3:4]
	v_cndmask_b32_e32 v2, v4, v2, vcc_lo
	v_cndmask_b32_e32 v1, v3, v1, vcc_lo
	ds_write_b64 v7, v[1:2]
.LBB5_8:
	s_or_b32 exec_lo, exec_lo, s0
	s_mov_b32 s0, exec_lo
	s_waitcnt lgkmcnt(0)
	s_barrier
	buffer_gl0_inv
	v_cmpx_gt_u32_e32 32, v0
	s_cbranch_execz .LBB5_10
; %bb.9:
	ds_read2_b64 v[1:4], v7 offset1:32
	s_waitcnt lgkmcnt(0)
	v_cmp_gt_i64_e32 vcc_lo, v[1:2], v[3:4]
	v_cndmask_b32_e32 v2, v4, v2, vcc_lo
	v_cndmask_b32_e32 v1, v3, v1, vcc_lo
	ds_write_b64 v7, v[1:2]
.LBB5_10:
	s_or_b32 exec_lo, exec_lo, s0
	s_mov_b32 s0, exec_lo
	s_waitcnt lgkmcnt(0)
	s_barrier
	buffer_gl0_inv
	v_cmpx_gt_u32_e32 16, v0
	s_cbranch_execz .LBB5_12
; %bb.11:
	ds_read2_b64 v[1:4], v7 offset1:16
	s_waitcnt lgkmcnt(0)
	v_cmp_gt_i64_e32 vcc_lo, v[1:2], v[3:4]
	v_cndmask_b32_e32 v2, v4, v2, vcc_lo
	v_cndmask_b32_e32 v1, v3, v1, vcc_lo
	ds_write_b64 v7, v[1:2]
.LBB5_12:
	;; [unrolled: 15-line block ×5, first 2 shown]
	s_or_b32 exec_lo, exec_lo, s0
	v_cmp_eq_u32_e32 vcc_lo, 0, v0
	s_waitcnt lgkmcnt(0)
	s_barrier
	buffer_gl0_inv
	s_and_saveexec_b32 s1, vcc_lo
	s_cbranch_execz .LBB5_20
; %bb.19:
	v_mov_b32_e32 v4, 0
	ds_read_b128 v[0:3], v4
	s_waitcnt lgkmcnt(0)
	v_cmp_gt_i64_e64 s0, v[0:1], v[2:3]
	v_cndmask_b32_e64 v1, v3, v1, s0
	v_cndmask_b32_e64 v0, v2, v0, s0
	ds_write_b64 v4, v[0:1]
.LBB5_20:
	s_or_b32 exec_lo, exec_lo, s1
	s_waitcnt lgkmcnt(0)
	s_barrier
	buffer_gl0_inv
	s_and_saveexec_b32 s0, vcc_lo
	s_cbranch_execz .LBB5_22
; %bb.21:
	v_mov_b32_e32 v2, 0
	s_mov_b32 s7, 0
	s_lshl_b64 s[0:1], s[6:7], 3
	s_add_u32 s0, s2, s0
	ds_read_b64 v[0:1], v2
	s_addc_u32 s1, s3, s1
	s_waitcnt lgkmcnt(0)
	global_store_dwordx2 v2, v[0:1], s[0:1]
.LBB5_22:
	s_endpgm
	.section	.rodata,"a",@progbits
	.p2align	6, 0x0
	.amdhsa_kernel _ZN9rocsparseL22ell_width_kernel_part1ILj256EllEEvT1_PKT0_PS1_
		.amdhsa_group_segment_fixed_size 2048
		.amdhsa_private_segment_fixed_size 0
		.amdhsa_kernarg_size 280
		.amdhsa_user_sgpr_count 6
		.amdhsa_user_sgpr_private_segment_buffer 1
		.amdhsa_user_sgpr_dispatch_ptr 0
		.amdhsa_user_sgpr_queue_ptr 0
		.amdhsa_user_sgpr_kernarg_segment_ptr 1
		.amdhsa_user_sgpr_dispatch_id 0
		.amdhsa_user_sgpr_flat_scratch_init 0
		.amdhsa_user_sgpr_private_segment_size 0
		.amdhsa_wavefront_size32 1
		.amdhsa_uses_dynamic_stack 0
		.amdhsa_system_sgpr_private_segment_wavefront_offset 0
		.amdhsa_system_sgpr_workgroup_id_x 1
		.amdhsa_system_sgpr_workgroup_id_y 0
		.amdhsa_system_sgpr_workgroup_id_z 0
		.amdhsa_system_sgpr_workgroup_info 0
		.amdhsa_system_vgpr_workitem_id 0
		.amdhsa_next_free_vgpr 11
		.amdhsa_next_free_sgpr 12
		.amdhsa_reserve_vcc 1
		.amdhsa_reserve_flat_scratch 0
		.amdhsa_float_round_mode_32 0
		.amdhsa_float_round_mode_16_64 0
		.amdhsa_float_denorm_mode_32 3
		.amdhsa_float_denorm_mode_16_64 3
		.amdhsa_dx10_clamp 1
		.amdhsa_ieee_mode 1
		.amdhsa_fp16_overflow 0
		.amdhsa_workgroup_processor_mode 1
		.amdhsa_memory_ordered 1
		.amdhsa_forward_progress 1
		.amdhsa_shared_vgpr_count 0
		.amdhsa_exception_fp_ieee_invalid_op 0
		.amdhsa_exception_fp_denorm_src 0
		.amdhsa_exception_fp_ieee_div_zero 0
		.amdhsa_exception_fp_ieee_overflow 0
		.amdhsa_exception_fp_ieee_underflow 0
		.amdhsa_exception_fp_ieee_inexact 0
		.amdhsa_exception_int_div_zero 0
	.end_amdhsa_kernel
	.section	.text._ZN9rocsparseL22ell_width_kernel_part1ILj256EllEEvT1_PKT0_PS1_,"axG",@progbits,_ZN9rocsparseL22ell_width_kernel_part1ILj256EllEEvT1_PKT0_PS1_,comdat
.Lfunc_end5:
	.size	_ZN9rocsparseL22ell_width_kernel_part1ILj256EllEEvT1_PKT0_PS1_, .Lfunc_end5-_ZN9rocsparseL22ell_width_kernel_part1ILj256EllEEvT1_PKT0_PS1_
                                        ; -- End function
	.set _ZN9rocsparseL22ell_width_kernel_part1ILj256EllEEvT1_PKT0_PS1_.num_vgpr, 11
	.set _ZN9rocsparseL22ell_width_kernel_part1ILj256EllEEvT1_PKT0_PS1_.num_agpr, 0
	.set _ZN9rocsparseL22ell_width_kernel_part1ILj256EllEEvT1_PKT0_PS1_.numbered_sgpr, 12
	.set _ZN9rocsparseL22ell_width_kernel_part1ILj256EllEEvT1_PKT0_PS1_.num_named_barrier, 0
	.set _ZN9rocsparseL22ell_width_kernel_part1ILj256EllEEvT1_PKT0_PS1_.private_seg_size, 0
	.set _ZN9rocsparseL22ell_width_kernel_part1ILj256EllEEvT1_PKT0_PS1_.uses_vcc, 1
	.set _ZN9rocsparseL22ell_width_kernel_part1ILj256EllEEvT1_PKT0_PS1_.uses_flat_scratch, 0
	.set _ZN9rocsparseL22ell_width_kernel_part1ILj256EllEEvT1_PKT0_PS1_.has_dyn_sized_stack, 0
	.set _ZN9rocsparseL22ell_width_kernel_part1ILj256EllEEvT1_PKT0_PS1_.has_recursion, 0
	.set _ZN9rocsparseL22ell_width_kernel_part1ILj256EllEEvT1_PKT0_PS1_.has_indirect_call, 0
	.section	.AMDGPU.csdata,"",@progbits
; Kernel info:
; codeLenInByte = 888
; TotalNumSgprs: 14
; NumVgprs: 11
; ScratchSize: 0
; MemoryBound: 0
; FloatMode: 240
; IeeeMode: 1
; LDSByteSize: 2048 bytes/workgroup (compile time only)
; SGPRBlocks: 0
; VGPRBlocks: 1
; NumSGPRsForWavesPerEU: 14
; NumVGPRsForWavesPerEU: 11
; Occupancy: 16
; WaveLimiterHint : 0
; COMPUTE_PGM_RSRC2:SCRATCH_EN: 0
; COMPUTE_PGM_RSRC2:USER_SGPR: 6
; COMPUTE_PGM_RSRC2:TRAP_HANDLER: 0
; COMPUTE_PGM_RSRC2:TGID_X_EN: 1
; COMPUTE_PGM_RSRC2:TGID_Y_EN: 0
; COMPUTE_PGM_RSRC2:TGID_Z_EN: 0
; COMPUTE_PGM_RSRC2:TIDIG_COMP_CNT: 0
	.section	.AMDGPU.gpr_maximums,"",@progbits
	.set amdgpu.max_num_vgpr, 0
	.set amdgpu.max_num_agpr, 0
	.set amdgpu.max_num_sgpr, 0
	.section	.AMDGPU.csdata,"",@progbits
	.type	__hip_cuid_285bd7c3944e8979,@object ; @__hip_cuid_285bd7c3944e8979
	.section	.bss,"aw",@nobits
	.globl	__hip_cuid_285bd7c3944e8979
__hip_cuid_285bd7c3944e8979:
	.byte	0                               ; 0x0
	.size	__hip_cuid_285bd7c3944e8979, 1

	.ident	"AMD clang version 22.0.0git (https://github.com/RadeonOpenCompute/llvm-project roc-7.2.4 26084 f58b06dce1f9c15707c5f808fd002e18c2accf7e)"
	.section	".note.GNU-stack","",@progbits
	.addrsig
	.addrsig_sym __hip_cuid_285bd7c3944e8979
	.amdgpu_metadata
---
amdhsa.kernels:
  - .args:
      - .offset:         0
        .size:           4
        .value_kind:     by_value
      - .address_space:  global
        .offset:         8
        .size:           8
        .value_kind:     global_buffer
      - .address_space:  global
        .offset:         16
        .size:           8
        .value_kind:     global_buffer
      - .offset:         24
        .size:           4
        .value_kind:     hidden_block_count_x
      - .offset:         28
        .size:           4
        .value_kind:     hidden_block_count_y
      - .offset:         32
        .size:           4
        .value_kind:     hidden_block_count_z
      - .offset:         36
        .size:           2
        .value_kind:     hidden_group_size_x
      - .offset:         38
        .size:           2
        .value_kind:     hidden_group_size_y
      - .offset:         40
        .size:           2
        .value_kind:     hidden_group_size_z
      - .offset:         42
        .size:           2
        .value_kind:     hidden_remainder_x
      - .offset:         44
        .size:           2
        .value_kind:     hidden_remainder_y
      - .offset:         46
        .size:           2
        .value_kind:     hidden_remainder_z
      - .offset:         64
        .size:           8
        .value_kind:     hidden_global_offset_x
      - .offset:         72
        .size:           8
        .value_kind:     hidden_global_offset_y
      - .offset:         80
        .size:           8
        .value_kind:     hidden_global_offset_z
      - .offset:         88
        .size:           2
        .value_kind:     hidden_grid_dims
    .group_segment_fixed_size: 1024
    .kernarg_segment_align: 8
    .kernarg_segment_size: 280
    .language:       OpenCL C
    .language_version:
      - 2
      - 0
    .max_flat_workgroup_size: 256
    .name:           _ZN9rocsparseL22ell_width_kernel_part1ILj256EiiEEvT1_PKT0_PS1_
    .private_segment_fixed_size: 0
    .sgpr_count:     11
    .sgpr_spill_count: 0
    .symbol:         _ZN9rocsparseL22ell_width_kernel_part1ILj256EiiEEvT1_PKT0_PS1_.kd
    .uniform_work_group_size: 1
    .uses_dynamic_stack: false
    .vgpr_count:     7
    .vgpr_spill_count: 0
    .wavefront_size: 32
    .workgroup_processor_mode: 1
  - .args:
      - .offset:         0
        .size:           4
        .value_kind:     by_value
      - .address_space:  global
        .offset:         8
        .size:           8
        .value_kind:     global_buffer
    .group_segment_fixed_size: 1024
    .kernarg_segment_align: 8
    .kernarg_segment_size: 16
    .language:       OpenCL C
    .language_version:
      - 2
      - 0
    .max_flat_workgroup_size: 256
    .name:           _ZN9rocsparseL22ell_width_kernel_part2ILj256EiEEvT0_PS1_
    .private_segment_fixed_size: 0
    .sgpr_count:     8
    .sgpr_spill_count: 0
    .symbol:         _ZN9rocsparseL22ell_width_kernel_part2ILj256EiEEvT0_PS1_.kd
    .uniform_work_group_size: 1
    .uses_dynamic_stack: false
    .vgpr_count:     7
    .vgpr_spill_count: 0
    .wavefront_size: 32
    .workgroup_processor_mode: 1
  - .args:
      - .offset:         0
        .size:           4
        .value_kind:     by_value
      - .address_space:  global
        .offset:         8
        .size:           8
        .value_kind:     global_buffer
      - .address_space:  global
        .offset:         16
        .size:           8
        .value_kind:     global_buffer
      - .offset:         24
        .size:           4
        .value_kind:     hidden_block_count_x
      - .offset:         28
        .size:           4
        .value_kind:     hidden_block_count_y
      - .offset:         32
        .size:           4
        .value_kind:     hidden_block_count_z
      - .offset:         36
        .size:           2
        .value_kind:     hidden_group_size_x
      - .offset:         38
        .size:           2
        .value_kind:     hidden_group_size_y
      - .offset:         40
        .size:           2
        .value_kind:     hidden_group_size_z
      - .offset:         42
        .size:           2
        .value_kind:     hidden_remainder_x
      - .offset:         44
        .size:           2
        .value_kind:     hidden_remainder_y
      - .offset:         46
        .size:           2
        .value_kind:     hidden_remainder_z
      - .offset:         64
        .size:           8
        .value_kind:     hidden_global_offset_x
      - .offset:         72
        .size:           8
        .value_kind:     hidden_global_offset_y
      - .offset:         80
        .size:           8
        .value_kind:     hidden_global_offset_z
      - .offset:         88
        .size:           2
        .value_kind:     hidden_grid_dims
    .group_segment_fixed_size: 1024
    .kernarg_segment_align: 8
    .kernarg_segment_size: 280
    .language:       OpenCL C
    .language_version:
      - 2
      - 0
    .max_flat_workgroup_size: 256
    .name:           _ZN9rocsparseL22ell_width_kernel_part1ILj256EliEEvT1_PKT0_PS1_
    .private_segment_fixed_size: 0
    .sgpr_count:     11
    .sgpr_spill_count: 0
    .symbol:         _ZN9rocsparseL22ell_width_kernel_part1ILj256EliEEvT1_PKT0_PS1_.kd
    .uniform_work_group_size: 1
    .uses_dynamic_stack: false
    .vgpr_count:     9
    .vgpr_spill_count: 0
    .wavefront_size: 32
    .workgroup_processor_mode: 1
  - .args:
      - .offset:         0
        .size:           8
        .value_kind:     by_value
      - .address_space:  global
        .offset:         8
        .size:           8
        .value_kind:     global_buffer
      - .address_space:  global
        .offset:         16
        .size:           8
        .value_kind:     global_buffer
      - .offset:         24
        .size:           4
        .value_kind:     hidden_block_count_x
      - .offset:         28
        .size:           4
        .value_kind:     hidden_block_count_y
      - .offset:         32
        .size:           4
        .value_kind:     hidden_block_count_z
      - .offset:         36
        .size:           2
        .value_kind:     hidden_group_size_x
      - .offset:         38
        .size:           2
        .value_kind:     hidden_group_size_y
      - .offset:         40
        .size:           2
        .value_kind:     hidden_group_size_z
      - .offset:         42
        .size:           2
        .value_kind:     hidden_remainder_x
      - .offset:         44
        .size:           2
        .value_kind:     hidden_remainder_y
      - .offset:         46
        .size:           2
        .value_kind:     hidden_remainder_z
      - .offset:         64
        .size:           8
        .value_kind:     hidden_global_offset_x
      - .offset:         72
        .size:           8
        .value_kind:     hidden_global_offset_y
      - .offset:         80
        .size:           8
        .value_kind:     hidden_global_offset_z
      - .offset:         88
        .size:           2
        .value_kind:     hidden_grid_dims
    .group_segment_fixed_size: 2048
    .kernarg_segment_align: 8
    .kernarg_segment_size: 280
    .language:       OpenCL C
    .language_version:
      - 2
      - 0
    .max_flat_workgroup_size: 256
    .name:           _ZN9rocsparseL22ell_width_kernel_part1ILj256EilEEvT1_PKT0_PS1_
    .private_segment_fixed_size: 0
    .sgpr_count:     14
    .sgpr_spill_count: 0
    .symbol:         _ZN9rocsparseL22ell_width_kernel_part1ILj256EilEEvT1_PKT0_PS1_.kd
    .uniform_work_group_size: 1
    .uses_dynamic_stack: false
    .vgpr_count:     11
    .vgpr_spill_count: 0
    .wavefront_size: 32
    .workgroup_processor_mode: 1
  - .args:
      - .offset:         0
        .size:           8
        .value_kind:     by_value
      - .address_space:  global
        .offset:         8
        .size:           8
        .value_kind:     global_buffer
    .group_segment_fixed_size: 2048
    .kernarg_segment_align: 8
    .kernarg_segment_size: 16
    .language:       OpenCL C
    .language_version:
      - 2
      - 0
    .max_flat_workgroup_size: 256
    .name:           _ZN9rocsparseL22ell_width_kernel_part2ILj256ElEEvT0_PS1_
    .private_segment_fixed_size: 0
    .sgpr_count:     10
    .sgpr_spill_count: 0
    .symbol:         _ZN9rocsparseL22ell_width_kernel_part2ILj256ElEEvT0_PS1_.kd
    .uniform_work_group_size: 1
    .uses_dynamic_stack: false
    .vgpr_count:     11
    .vgpr_spill_count: 0
    .wavefront_size: 32
    .workgroup_processor_mode: 1
  - .args:
      - .offset:         0
        .size:           8
        .value_kind:     by_value
      - .address_space:  global
        .offset:         8
        .size:           8
        .value_kind:     global_buffer
      - .address_space:  global
        .offset:         16
        .size:           8
        .value_kind:     global_buffer
      - .offset:         24
        .size:           4
        .value_kind:     hidden_block_count_x
      - .offset:         28
        .size:           4
        .value_kind:     hidden_block_count_y
      - .offset:         32
        .size:           4
        .value_kind:     hidden_block_count_z
      - .offset:         36
        .size:           2
        .value_kind:     hidden_group_size_x
      - .offset:         38
        .size:           2
        .value_kind:     hidden_group_size_y
      - .offset:         40
        .size:           2
        .value_kind:     hidden_group_size_z
      - .offset:         42
        .size:           2
        .value_kind:     hidden_remainder_x
      - .offset:         44
        .size:           2
        .value_kind:     hidden_remainder_y
      - .offset:         46
        .size:           2
        .value_kind:     hidden_remainder_z
      - .offset:         64
        .size:           8
        .value_kind:     hidden_global_offset_x
      - .offset:         72
        .size:           8
        .value_kind:     hidden_global_offset_y
      - .offset:         80
        .size:           8
        .value_kind:     hidden_global_offset_z
      - .offset:         88
        .size:           2
        .value_kind:     hidden_grid_dims
    .group_segment_fixed_size: 2048
    .kernarg_segment_align: 8
    .kernarg_segment_size: 280
    .language:       OpenCL C
    .language_version:
      - 2
      - 0
    .max_flat_workgroup_size: 256
    .name:           _ZN9rocsparseL22ell_width_kernel_part1ILj256EllEEvT1_PKT0_PS1_
    .private_segment_fixed_size: 0
    .sgpr_count:     14
    .sgpr_spill_count: 0
    .symbol:         _ZN9rocsparseL22ell_width_kernel_part1ILj256EllEEvT1_PKT0_PS1_.kd
    .uniform_work_group_size: 1
    .uses_dynamic_stack: false
    .vgpr_count:     11
    .vgpr_spill_count: 0
    .wavefront_size: 32
    .workgroup_processor_mode: 1
amdhsa.target:   amdgcn-amd-amdhsa--gfx1030
amdhsa.version:
  - 1
  - 2
...

	.end_amdgpu_metadata
